;; amdgpu-corpus repo=ROCm/rocFFT kind=compiled arch=gfx1030 opt=O3
	.text
	.amdgcn_target "amdgcn-amd-amdhsa--gfx1030"
	.amdhsa_code_object_version 6
	.protected	fft_rtc_back_len108_factors_6_2_9_wgs_252_tpt_9_dim2_sp_ip_CI_sbcc_twdbase8_3step_dirReg ; -- Begin function fft_rtc_back_len108_factors_6_2_9_wgs_252_tpt_9_dim2_sp_ip_CI_sbcc_twdbase8_3step_dirReg
	.globl	fft_rtc_back_len108_factors_6_2_9_wgs_252_tpt_9_dim2_sp_ip_CI_sbcc_twdbase8_3step_dirReg
	.p2align	8
	.type	fft_rtc_back_len108_factors_6_2_9_wgs_252_tpt_9_dim2_sp_ip_CI_sbcc_twdbase8_3step_dirReg,@function
fft_rtc_back_len108_factors_6_2_9_wgs_252_tpt_9_dim2_sp_ip_CI_sbcc_twdbase8_3step_dirReg: ; @fft_rtc_back_len108_factors_6_2_9_wgs_252_tpt_9_dim2_sp_ip_CI_sbcc_twdbase8_3step_dirReg
; %bb.0:
	s_load_dwordx4 s[0:3], s[4:5], 0x10
	s_mov_b64 s[20:21], 0
	s_waitcnt lgkmcnt(0)
	s_load_dwordx2 s[14:15], s[0:1], 0x8
	s_waitcnt lgkmcnt(0)
	s_add_u32 s0, s14, -1
	s_addc_u32 s1, s15, -1
	s_add_u32 s7, 0, 0x24920400
	s_addc_u32 s8, 0, 25
	s_mul_hi_u32 s10, s7, 0xffffffe4
	s_add_i32 s8, s8, 0x9249230
	s_sub_i32 s10, s10, s7
	s_mul_i32 s12, s8, 0xffffffe4
	s_mul_i32 s9, s7, 0xffffffe4
	s_add_i32 s10, s10, s12
	s_mul_hi_u32 s11, s7, s9
	s_mul_i32 s16, s7, s10
	s_mul_hi_u32 s12, s7, s10
	s_mul_hi_u32 s13, s8, s9
	s_mul_i32 s9, s8, s9
	s_add_u32 s11, s11, s16
	s_addc_u32 s12, 0, s12
	s_mul_hi_u32 s17, s8, s10
	s_add_u32 s9, s11, s9
	s_mul_i32 s10, s8, s10
	s_addc_u32 s9, s12, s13
	s_addc_u32 s11, s17, 0
	s_add_u32 s9, s9, s10
	v_add_co_u32 v1, s7, s7, s9
	s_addc_u32 s9, 0, s11
	s_cmp_lg_u32 s7, 0
	s_addc_u32 s7, s8, s9
	v_readfirstlane_b32 s8, v1
	s_mul_i32 s10, s0, s7
	s_mul_hi_u32 s9, s0, s7
	s_mul_hi_u32 s11, s1, s7
	s_mul_i32 s7, s1, s7
	s_mul_hi_u32 s12, s0, s8
	s_mul_hi_u32 s13, s1, s8
	s_mul_i32 s8, s1, s8
	s_add_u32 s10, s12, s10
	s_addc_u32 s9, 0, s9
	s_add_u32 s8, s10, s8
	s_addc_u32 s8, s9, s13
	s_addc_u32 s9, s11, 0
	s_add_u32 s8, s8, s7
	s_addc_u32 s9, 0, s9
	s_mul_i32 s10, s8, 28
	s_add_u32 s7, s8, 1
	v_sub_co_u32 v1, s0, s0, s10
	s_mul_hi_u32 s10, s8, 28
	s_addc_u32 s11, s9, 0
	s_mul_i32 s12, s9, 28
	v_sub_co_u32 v2, s13, v1, 28
	s_add_u32 s16, s8, 2
	s_addc_u32 s17, s9, 0
	s_add_i32 s10, s10, s12
	s_cmp_lg_u32 s0, 0
	v_readfirstlane_b32 s0, v2
	s_subb_u32 s1, s1, s10
	s_cmp_lg_u32 s13, 0
	s_load_dwordx2 s[12:13], s[2:3], 0x0
	s_subb_u32 s10, s1, 0
	s_cmp_gt_u32 s0, 27
	s_cselect_b32 s0, -1, 0
	s_cmp_eq_u32 s10, 0
	v_readfirstlane_b32 s10, v1
	s_cselect_b32 s0, s0, -1
	s_cmp_lg_u32 s0, 0
	s_cselect_b32 s0, s16, s7
	s_cselect_b32 s11, s17, s11
	s_cmp_gt_u32 s10, 27
	s_load_dwordx2 s[16:17], s[4:5], 0x50
	s_cselect_b32 s7, -1, 0
	s_cmp_eq_u32 s1, 0
	s_cselect_b32 s1, s7, -1
	s_mov_b32 s7, 0
	s_cmp_lg_u32 s1, 0
	s_cselect_b32 s0, s0, s8
	s_cselect_b32 s1, s11, s9
	s_add_u32 s0, s0, 1
	s_addc_u32 s1, s1, 0
	v_cmp_lt_u64_e64 s8, s[6:7], s[0:1]
	s_mov_b32 s7, -1
	s_and_b32 vcc_lo, exec_lo, s8
	s_cbranch_vccnz .LBB0_2
; %bb.1:
	v_cvt_f32_u32_e32 v1, s0
	s_sub_i32 s9, 0, s0
	v_rcp_iflag_f32_e32 v1, v1
	v_mul_f32_e32 v1, 0x4f7ffffe, v1
	v_cvt_u32_f32_e32 v1, v1
	v_readfirstlane_b32 s8, v1
	s_mul_i32 s9, s9, s8
	s_mul_hi_u32 s9, s8, s9
	s_add_i32 s8, s8, s9
	s_mul_hi_u32 s8, s6, s8
	s_mul_i32 s9, s8, s0
	s_add_i32 s10, s8, 1
	s_sub_i32 s9, s6, s9
	s_sub_i32 s11, s9, s0
	s_cmp_ge_u32 s9, s0
	s_cselect_b32 s8, s10, s8
	s_cselect_b32 s9, s11, s9
	s_add_i32 s10, s8, 1
	s_cmp_ge_u32 s9, s0
	s_cselect_b32 s20, s10, s8
.LBB0_2:
	s_load_dwordx4 s[8:11], s[2:3], 0x8
	v_mul_u32_u24_e32 v1, 0x925, v0
	s_mul_i32 s1, s20, s1
	s_mul_hi_u32 s2, s20, s0
	s_mul_i32 s0, s20, s0
	s_add_i32 s2, s2, s1
	v_lshrrev_b32_e32 v124, 16, v1
	s_sub_u32 s0, s6, s0
	s_subb_u32 s1, 0, s2
	s_load_dwordx2 s[18:19], s[4:5], 0x0
	s_mul_hi_u32 s2, s0, 28
	v_mul_lo_u16 v1, v124, 28
	s_mul_i32 s1, s1, 28
	s_mul_i32 s6, s0, 28
	s_add_i32 s21, s2, s1
	v_add_nc_u32_e32 v28, 18, v124
	v_sub_nc_u16 v25, v0, v1
	v_add_nc_u32_e32 v29, 36, v124
	v_add_nc_u32_e32 v30, 9, v124
	;; [unrolled: 1-line block ×3, first 2 shown]
	s_waitcnt lgkmcnt(0)
	s_mul_i32 s1, s6, s9
	s_mul_hi_u32 s2, s6, s8
	s_mul_i32 s0, s21, s8
	s_mul_i32 s11, s11, s20
	s_mul_hi_u32 s22, s10, s20
	s_add_i32 s1, s2, s1
	s_mul_i32 s3, s6, s8
	s_mul_i32 s2, s10, s20
	s_add_i32 s1, s1, s0
	s_add_i32 s22, s22, s11
	s_add_u32 s2, s2, s3
	s_addc_u32 s3, s22, s1
	v_and_b32_e32 v128, 0xffff, v25
	s_add_u32 s0, s6, 28
	s_addc_u32 s1, s21, 0
	v_add_nc_u32_e32 v34, 45, v124
	v_cmp_gt_u64_e64 s10, s[0:1], s[14:15]
	v_add_co_u32 v32, s6, s6, v128
	v_cmp_le_u64_e64 s1, s[0:1], s[14:15]
	v_add_co_ci_u32_e64 v33, null, s21, 0, s6
	v_add_nc_u32_e32 v125, 0x51, v124
	s_and_b32 vcc_lo, exec_lo, s10
	s_cbranch_vccnz .LBB0_4
; %bb.3:
	v_mad_u64_u32 v[1:2], null, s8, v128, 0
	v_mad_u64_u32 v[3:4], null, s12, v124, 0
	v_add_nc_u32_e32 v26, 18, v124
	v_add_nc_u32_e32 v27, 36, v124
	s_lshl_b64 s[6:7], s[2:3], 3
	v_add_nc_u32_e32 v12, 54, v124
	s_add_u32 s0, s16, s6
	s_addc_u32 s6, s17, s7
	v_mad_u64_u32 v[5:6], null, s9, v128, v[2:3]
	v_mad_u64_u32 v[6:7], null, s12, v26, 0
	v_add_nc_u32_e32 v15, 0x48, v124
	v_add_nc_u32_e32 v16, 0x5a, v124
	;; [unrolled: 1-line block ×4, first 2 shown]
	v_mad_u64_u32 v[8:9], null, s13, v124, v[4:5]
	v_mad_u64_u32 v[9:10], null, s12, v27, 0
	v_mov_b32_e32 v2, v5
	v_mov_b32_e32 v5, v7
	v_mad_u64_u32 v[13:14], null, s12, v16, 0
	v_mov_b32_e32 v4, v8
	v_lshlrev_b64 v[1:2], 3, v[1:2]
	v_mov_b32_e32 v8, v10
	v_mad_u64_u32 v[10:11], null, s13, v26, v[5:6]
	v_lshlrev_b64 v[3:4], 3, v[3:4]
	v_add_nc_u32_e32 v127, 45, v124
	v_add_co_u32 v41, vcc_lo, s0, v1
	v_add_co_ci_u32_e32 v42, vcc_lo, s6, v2, vcc_lo
	v_mad_u64_u32 v[1:2], null, s12, v12, 0
	v_mov_b32_e32 v7, v10
	v_add_co_u32 v3, vcc_lo, v41, v3
	v_mad_u64_u32 v[10:11], null, s13, v27, v[8:9]
	v_lshlrev_b64 v[5:6], 3, v[6:7]
	v_mad_u64_u32 v[7:8], null, s13, v12, v[2:3]
	v_mad_u64_u32 v[11:12], null, s12, v15, 0
	v_add_co_ci_u32_e32 v4, vcc_lo, v42, v4, vcc_lo
	v_add_co_u32 v5, vcc_lo, v41, v5
	v_mov_b32_e32 v2, v7
	v_lshlrev_b64 v[7:8], 3, v[9:10]
	v_mov_b32_e32 v9, v12
	v_add_co_ci_u32_e32 v6, vcc_lo, v42, v6, vcc_lo
	v_lshlrev_b64 v[1:2], 3, v[1:2]
	v_mad_u64_u32 v[19:20], null, s12, v127, 0
	v_mad_u64_u32 v[9:10], null, s13, v15, v[9:10]
	v_mov_b32_e32 v10, v14
	v_add_co_u32 v7, vcc_lo, v41, v7
	v_add_co_ci_u32_e32 v8, vcc_lo, v42, v8, vcc_lo
	v_mad_u64_u32 v[16:17], null, s13, v16, v[10:11]
	v_mad_u64_u32 v[17:18], null, s12, v126, 0
	v_mov_b32_e32 v12, v9
	v_add_co_u32 v14, vcc_lo, v41, v1
	v_add_co_ci_u32_e32 v15, vcc_lo, v42, v2, vcc_lo
	s_clause 0x3
	global_load_dwordx2 v[1:2], v[3:4], off
	global_load_dwordx2 v[3:4], v[5:6], off
	;; [unrolled: 1-line block ×4, first 2 shown]
	v_lshlrev_b64 v[7:8], 3, v[11:12]
	v_mov_b32_e32 v14, v16
	v_mov_b32_e32 v11, v18
	v_mad_u64_u32 v[15:16], null, s12, v35, 0
	v_add_nc_u32_e32 v36, 63, v124
	v_lshlrev_b64 v[13:14], 3, v[13:14]
	v_mad_u64_u32 v[11:12], null, s13, v126, v[11:12]
	v_add_co_u32 v7, vcc_lo, v41, v7
	v_mov_b32_e32 v12, v16
	v_mad_u64_u32 v[21:22], null, s12, v36, 0
	v_add_co_ci_u32_e32 v8, vcc_lo, v42, v8, vcc_lo
	v_mov_b32_e32 v18, v11
	v_mad_u64_u32 v[11:12], null, s13, v35, v[12:13]
	v_mov_b32_e32 v12, v20
	v_add_co_u32 v13, vcc_lo, v41, v13
	v_mad_u64_u32 v[23:24], null, s12, v125, 0
	v_add_nc_u32_e32 v39, 0x63, v124
	v_mov_b32_e32 v16, v11
	v_mad_u64_u32 v[11:12], null, s13, v127, v[12:13]
	v_mov_b32_e32 v12, v22
	v_lshlrev_b64 v[17:18], 3, v[17:18]
	v_lshlrev_b64 v[15:16], 3, v[15:16]
	v_add_co_ci_u32_e32 v14, vcc_lo, v42, v14, vcc_lo
	v_mad_u64_u32 v[36:37], null, s13, v36, v[12:13]
	v_mad_u64_u32 v[37:38], null, s12, v39, 0
	v_mov_b32_e32 v12, v24
	v_mov_b32_e32 v20, v11
	v_add_co_u32 v17, vcc_lo, v41, v17
	v_mov_b32_e32 v22, v36
	v_mad_u64_u32 v[11:12], null, s13, v125, v[12:13]
	v_mov_b32_e32 v12, v38
	v_lshlrev_b64 v[19:20], 3, v[19:20]
	v_add_co_ci_u32_e32 v18, vcc_lo, v42, v18, vcc_lo
	v_add_co_u32 v15, vcc_lo, v41, v15
	v_mad_u64_u32 v[38:39], null, s13, v39, v[12:13]
	v_lshlrev_b64 v[21:22], 3, v[21:22]
	v_mov_b32_e32 v24, v11
	v_add_co_ci_u32_e32 v16, vcc_lo, v42, v16, vcc_lo
	v_add_co_u32 v19, vcc_lo, v41, v19
	v_add_co_ci_u32_e32 v20, vcc_lo, v42, v20, vcc_lo
	v_lshlrev_b64 v[11:12], 3, v[23:24]
	v_add_co_u32 v39, vcc_lo, v41, v21
	v_add_co_ci_u32_e32 v40, vcc_lo, v42, v22, vcc_lo
	v_lshlrev_b64 v[21:22], 3, v[37:38]
	v_add_co_u32 v36, vcc_lo, v41, v11
	v_add_co_ci_u32_e32 v37, vcc_lo, v42, v12, vcc_lo
	v_add_co_u32 v41, vcc_lo, v41, v21
	v_add_co_ci_u32_e32 v42, vcc_lo, v42, v22, vcc_lo
	s_clause 0x7
	global_load_dwordx2 v[23:24], v[7:8], off
	global_load_dwordx2 v[21:22], v[13:14], off
	;; [unrolled: 1-line block ×8, first 2 shown]
	s_cbranch_execz .LBB0_5
	s_branch .LBB0_10
.LBB0_4:
                                        ; implicit-def: $vgpr1
                                        ; implicit-def: $vgpr21
                                        ; implicit-def: $vgpr7
                                        ; implicit-def: $vgpr11
                                        ; implicit-def: $vgpr15
                                        ; implicit-def: $vgpr13
                                        ; implicit-def: $vgpr19
                                        ; implicit-def: $vgpr17
                                        ; implicit-def: $vgpr23
                                        ; implicit-def: $vgpr5
                                        ; implicit-def: $vgpr9
                                        ; implicit-def: $vgpr3
                                        ; implicit-def: $vgpr126
                                        ; implicit-def: $vgpr26
                                        ; implicit-def: $vgpr35
                                        ; implicit-def: $vgpr27
                                        ; implicit-def: $vgpr127
	s_andn2_b32 vcc_lo, exec_lo, s7
	s_cbranch_vccnz .LBB0_10
.LBB0_5:
	s_mov_b32 s0, exec_lo
                                        ; implicit-def: $vgpr126
                                        ; implicit-def: $vgpr26
                                        ; implicit-def: $vgpr35
                                        ; implicit-def: $vgpr27
                                        ; implicit-def: $vgpr127
	v_cmpx_le_u64_e64 s[14:15], v[32:33]
	s_xor_b32 s0, exec_lo, s0
; %bb.6:
	v_add_nc_u32_e32 v126, 9, v124
	v_add_nc_u32_e32 v26, 18, v124
	v_add_nc_u32_e32 v35, 27, v124
	v_add_nc_u32_e32 v27, 36, v124
	v_add_nc_u32_e32 v127, 45, v124
                                        ; implicit-def: $vgpr28
                                        ; implicit-def: $vgpr29
                                        ; implicit-def: $vgpr30
                                        ; implicit-def: $vgpr31
                                        ; implicit-def: $vgpr34
; %bb.7:
	s_or_saveexec_b32 s0, s0
                                        ; implicit-def: $vgpr1
                                        ; implicit-def: $vgpr21
                                        ; implicit-def: $vgpr7
                                        ; implicit-def: $vgpr11
                                        ; implicit-def: $vgpr15
                                        ; implicit-def: $vgpr13
                                        ; implicit-def: $vgpr19
                                        ; implicit-def: $vgpr17
                                        ; implicit-def: $vgpr23
                                        ; implicit-def: $vgpr5
                                        ; implicit-def: $vgpr9
                                        ; implicit-def: $vgpr3
	s_xor_b32 exec_lo, exec_lo, s0
	s_cbranch_execz .LBB0_9
; %bb.8:
	s_waitcnt vmcnt(11)
	v_mad_u64_u32 v[1:2], null, s8, v128, 0
	s_waitcnt vmcnt(10)
	v_mad_u64_u32 v[3:4], null, s12, v124, 0
	s_waitcnt vmcnt(0)
	v_add_nc_u32_e32 v13, 54, v124
	s_lshl_b64 s[6:7], s[2:3], 3
	v_add_nc_u32_e32 v15, 0x48, v124
	s_add_u32 s6, s16, s6
	s_addc_u32 s7, s17, s7
	v_mad_u64_u32 v[11:12], null, s12, v13, 0
	v_mad_u64_u32 v[5:6], null, s9, v128, v[2:3]
	;; [unrolled: 1-line block ×4, first 2 shown]
	v_add_nc_u32_e32 v24, 63, v124
	v_mad_u64_u32 v[26:27], null, s12, v125, 0
	v_mad_u64_u32 v[8:9], null, s13, v124, v[4:5]
	v_mov_b32_e32 v2, v5
	v_mad_u64_u32 v[9:10], null, s12, v29, 0
	v_mov_b32_e32 v5, v7
	;; [unrolled: 2-line block ×3, first 2 shown]
	v_lshlrev_b64 v[1:2], 3, v[1:2]
	v_mad_u64_u32 v[7:8], null, s13, v28, v[5:6]
	v_mov_b32_e32 v5, v10
	v_lshlrev_b64 v[3:4], 3, v[3:4]
	v_mov_b32_e32 v8, v12
	v_add_co_u32 v38, vcc_lo, s6, v1
	v_add_co_ci_u32_e32 v39, vcc_lo, s7, v2, vcc_lo
	v_mad_u64_u32 v[1:2], null, s13, v29, v[5:6]
	v_add_co_u32 v2, vcc_lo, v38, v3
	v_mad_u64_u32 v[12:13], null, s13, v13, v[8:9]
	v_add_co_ci_u32_e32 v3, vcc_lo, v39, v4, vcc_lo
	v_lshlrev_b64 v[4:5], 3, v[6:7]
	v_mad_u64_u32 v[7:8], null, s12, v15, 0
	v_add_nc_u32_e32 v6, 0x5a, v124
	v_mov_b32_e32 v10, v1
	v_lshlrev_b64 v[11:12], 3, v[11:12]
	v_add_co_u32 v4, vcc_lo, v38, v4
	v_mad_u64_u32 v[13:14], null, s12, v6, 0
	v_mov_b32_e32 v1, v8
	v_lshlrev_b64 v[9:10], 3, v[9:10]
	v_add_co_ci_u32_e32 v5, vcc_lo, v39, v5, vcc_lo
	v_add_nc_u32_e32 v37, 0x63, v124
	v_mad_u64_u32 v[15:16], null, s13, v15, v[1:2]
	v_mov_b32_e32 v1, v14
	v_mad_u64_u32 v[16:17], null, s12, v30, 0
	v_add_co_u32 v9, vcc_lo, v38, v9
	v_mad_u64_u32 v[18:19], null, s13, v6, v[1:2]
	v_add_co_ci_u32_e32 v10, vcc_lo, v39, v10, vcc_lo
	v_add_co_u32 v11, vcc_lo, v38, v11
	v_add_co_ci_u32_e32 v12, vcc_lo, v39, v12, vcc_lo
	s_clause 0x3
	global_load_dwordx2 v[1:2], v[2:3], off
	global_load_dwordx2 v[3:4], v[4:5], off
	;; [unrolled: 1-line block ×4, first 2 shown]
	v_mov_b32_e32 v11, v17
	v_mov_b32_e32 v14, v18
	v_mad_u64_u32 v[18:19], null, s12, v31, 0
	v_mov_b32_e32 v8, v15
	v_mad_u64_u32 v[11:12], null, s13, v30, v[11:12]
	v_lshlrev_b64 v[13:14], 3, v[13:14]
	v_mad_u64_u32 v[35:36], null, s12, v37, 0
	v_lshlrev_b64 v[7:8], 3, v[7:8]
	v_mov_b32_e32 v12, v19
	v_mov_b32_e32 v126, v30
	;; [unrolled: 1-line block ×4, first 2 shown]
	v_add_co_u32 v7, vcc_lo, v38, v7
	v_mad_u64_u32 v[11:12], null, s13, v31, v[12:13]
	v_add_co_ci_u32_e32 v8, vcc_lo, v39, v8, vcc_lo
	v_mov_b32_e32 v12, v21
	v_add_co_u32 v13, vcc_lo, v38, v13
	v_lshlrev_b64 v[15:16], 3, v[16:17]
	v_mov_b32_e32 v19, v11
	v_add_co_ci_u32_e32 v14, vcc_lo, v39, v14, vcc_lo
	v_mad_u64_u32 v[11:12], null, s13, v34, v[12:13]
	v_mov_b32_e32 v12, v23
	v_lshlrev_b64 v[17:18], 3, v[18:19]
	v_add_co_u32 v15, vcc_lo, v38, v15
	v_add_co_ci_u32_e32 v16, vcc_lo, v39, v16, vcc_lo
	v_mad_u64_u32 v[23:24], null, s13, v24, v[12:13]
	v_mov_b32_e32 v12, v27
	v_mov_b32_e32 v21, v11
	v_add_co_u32 v17, vcc_lo, v38, v17
	v_add_co_ci_u32_e32 v18, vcc_lo, v39, v18, vcc_lo
	v_mad_u64_u32 v[11:12], null, s13, v125, v[12:13]
	v_mov_b32_e32 v12, v36
	v_lshlrev_b64 v[19:20], 3, v[20:21]
	v_lshlrev_b64 v[21:22], 3, v[22:23]
	v_mad_u64_u32 v[36:37], null, s13, v37, v[12:13]
	v_mov_b32_e32 v27, v11
	v_add_co_u32 v19, vcc_lo, v38, v19
	v_add_co_ci_u32_e32 v20, vcc_lo, v39, v20, vcc_lo
	v_lshlrev_b64 v[11:12], 3, v[26:27]
	v_add_co_u32 v26, vcc_lo, v38, v21
	v_add_co_ci_u32_e32 v27, vcc_lo, v39, v22, vcc_lo
	v_lshlrev_b64 v[21:22], 3, v[35:36]
	v_add_co_u32 v35, vcc_lo, v38, v11
	v_add_co_ci_u32_e32 v36, vcc_lo, v39, v12, vcc_lo
	v_add_co_u32 v37, vcc_lo, v38, v21
	v_add_co_ci_u32_e32 v38, vcc_lo, v39, v22, vcc_lo
	s_clause 0x7
	global_load_dwordx2 v[23:24], v[7:8], off
	global_load_dwordx2 v[21:22], v[13:14], off
	;; [unrolled: 1-line block ×8, first 2 shown]
	v_mov_b32_e32 v26, v28
	v_mov_b32_e32 v35, v31
	;; [unrolled: 1-line block ×3, first 2 shown]
.LBB0_9:
	s_or_b32 exec_lo, exec_lo, s0
.LBB0_10:
	s_waitcnt vmcnt(9)
	v_add_f32_e32 v29, v9, v1
	s_waitcnt vmcnt(7)
	v_sub_f32_e32 v30, v10, v24
	v_add_f32_e32 v31, v10, v24
	v_add_f32_e32 v10, v10, v2
	;; [unrolled: 1-line block ×3, first 2 shown]
	v_sub_f32_e32 v9, v9, v23
	v_add_f32_e32 v23, v23, v29
	s_waitcnt vmcnt(6)
	v_add_f32_e32 v29, v6, v22
	v_add_f32_e32 v24, v24, v10
	;; [unrolled: 1-line block ×3, first 2 shown]
	v_fmac_f32_e32 v1, -0.5, v28
	v_fmac_f32_e32 v2, -0.5, v31
	v_add_f32_e32 v31, v4, v6
	v_fmac_f32_e32 v4, -0.5, v29
	v_sub_f32_e32 v29, v5, v21
	v_add_f32_e32 v5, v3, v5
	v_fmac_f32_e32 v3, -0.5, v10
	v_sub_f32_e32 v6, v6, v22
	v_fmamk_f32 v28, v30, 0xbf5db3d7, v1
	v_fmac_f32_e32 v1, 0x3f5db3d7, v30
	v_fmamk_f32 v30, v9, 0x3f5db3d7, v2
	v_fmac_f32_e32 v2, 0xbf5db3d7, v9
	;; [unrolled: 2-line block ×3, first 2 shown]
	v_add_f32_e32 v29, v5, v21
	v_fmamk_f32 v5, v6, 0xbf5db3d7, v3
	v_fmac_f32_e32 v3, 0x3f5db3d7, v6
	v_mul_f32_e32 v6, 0xbf5db3d7, v9
	v_mul_f32_e32 v34, 0xbf5db3d7, v4
	v_mul_f32_e32 v37, -0.5, v4
	v_mul_f32_e32 v36, 0x3f5db3d7, v5
	v_add_f32_e32 v31, v31, v22
	v_fmac_f32_e32 v6, 0.5, v5
	v_fmac_f32_e32 v34, -0.5, v3
	v_fmac_f32_e32 v37, 0x3f5db3d7, v3
	v_fmac_f32_e32 v36, 0.5, v9
	s_waitcnt vmcnt(1)
	v_add_f32_e32 v3, v19, v15
	v_add_f32_e32 v4, v29, v23
	;; [unrolled: 1-line block ×3, first 2 shown]
	v_sub_f32_e32 v23, v23, v29
	v_add_f32_e32 v10, v30, v36
	v_sub_f32_e32 v28, v28, v6
	v_sub_f32_e32 v29, v30, v36
	v_add_f32_e32 v6, v15, v7
	v_fmac_f32_e32 v7, -0.5, v3
	v_sub_f32_e32 v3, v16, v20
	v_add_f32_e32 v30, v16, v8
	v_add_f32_e32 v5, v31, v24
	v_sub_f32_e32 v24, v24, v31
	v_add_f32_e32 v16, v20, v16
	v_fmamk_f32 v31, v3, 0xbf5db3d7, v7
	v_fmac_f32_e32 v7, 0x3f5db3d7, v3
	v_add_f32_e32 v3, v20, v30
	s_waitcnt vmcnt(0)
	v_add_f32_e32 v20, v18, v14
	v_add_f32_e32 v6, v19, v6
	v_fmac_f32_e32 v8, -0.5, v16
	v_sub_f32_e32 v15, v15, v19
	v_add_f32_e32 v16, v17, v13
	v_add_f32_e32 v19, v18, v12
	v_fmac_f32_e32 v12, -0.5, v20
	v_sub_f32_e32 v20, v17, v13
	v_add_f32_e32 v17, v17, v11
	v_fmac_f32_e32 v11, -0.5, v16
	v_sub_f32_e32 v16, v18, v14
	v_add_f32_e32 v22, v2, v37
	v_fmamk_f32 v18, v20, 0x3f5db3d7, v12
	v_fmac_f32_e32 v12, 0xbf5db3d7, v20
	v_add_f32_e32 v20, v13, v17
	v_fmamk_f32 v13, v16, 0xbf5db3d7, v11
	v_fmac_f32_e32 v11, 0x3f5db3d7, v16
	v_mul_f32_e32 v30, 0xbf5db3d7, v18
	v_mul_f32_e32 v36, 0xbf5db3d7, v12
	v_sub_f32_e32 v2, v2, v37
	v_add_f32_e32 v19, v14, v19
	v_mul_f32_e32 v37, 0x3f5db3d7, v13
	v_fmac_f32_e32 v30, 0.5, v13
	v_mul_f32_e32 v38, -0.5, v12
	v_fmac_f32_e32 v36, -0.5, v11
	v_mov_b32_e32 v74, 3
	v_fmac_f32_e32 v37, 0.5, v18
	v_add_f32_e32 v14, v31, v30
	v_fmac_f32_e32 v38, 0x3f5db3d7, v11
	v_add_f32_e32 v16, v7, v36
	v_add_f32_e32 v13, v19, v3
	v_sub_f32_e32 v18, v31, v30
	v_mul_u32_u24_e32 v11, 0x540, v124
	v_lshlrev_b32_sdwa v48, v74, v25 dst_sel:DWORD dst_unused:UNUSED_PAD src0_sel:DWORD src1_sel:WORD_0
	v_sub_f32_e32 v30, v7, v36
	v_sub_f32_e32 v7, v3, v19
	v_mul_lo_u16 v3, v124, 43
	v_add_f32_e32 v21, v1, v34
	v_add3_u32 v11, 0, v11, v48
	v_sub_f32_e32 v1, v1, v34
	ds_write2_b64 v11, v[4:5], v[9:10] offset1:28
	ds_write2_b64 v11, v[21:22], v[23:24] offset0:56 offset1:84
	ds_write2_b64 v11, v[28:29], v[1:2] offset0:112 offset1:140
	v_lshrrev_b16 v3, 8, v3
	v_fmamk_f32 v34, v15, 0x3f5db3d7, v8
	v_add_f32_e32 v12, v20, v6
	v_sub_f32_e32 v6, v6, v20
	v_mul_i32_i24_e32 v20, 0x540, v126
	v_mul_lo_u16 v1, v3, 6
	v_fmac_f32_e32 v8, 0xbf5db3d7, v15
	v_add_f32_e32 v15, v34, v37
	v_and_b32_e32 v2, 0xff, v26
	v_add3_u32 v25, 0, v20, v48
	v_sub_nc_u16 v4, v124, v1
	v_and_b32_e32 v1, 0xff, v126
	v_add_f32_e32 v17, v8, v38
	v_sub_f32_e32 v19, v34, v37
	v_sub_f32_e32 v31, v8, v38
	ds_write2_b64 v25, v[12:13], v[14:15] offset1:28
	ds_write2_b64 v25, v[16:17], v[6:7] offset0:56 offset1:84
	ds_write2_b64 v25, v[18:19], v[30:31] offset0:112 offset1:140
	v_mul_lo_u16 v8, 0xab, v1
	v_and_b32_e32 v1, 0xff, v35
	v_mul_lo_u16 v2, 0xab, v2
	v_and_b32_e32 v6, 0xff, v27
	v_and_b32_e32 v7, 0xff, v127
	v_lshrrev_b16 v9, 10, v8
	v_mul_lo_u16 v1, 0xab, v1
	v_lshrrev_b16 v10, 10, v2
	v_mul_lo_u16 v2, 0xab, v6
	v_mul_lo_u16 v6, 0xab, v7
	v_mul_lo_u16 v7, v9, 6
	v_lshrrev_b16 v12, 10, v1
	v_mul_lo_u16 v1, v10, 6
	v_lshrrev_b16 v13, 10, v2
	v_lshrrev_b16 v6, 10, v6
	v_sub_nc_u16 v2, v126, v7
	v_mul_lo_u16 v7, v12, 6
	v_sub_nc_u16 v1, v26, v1
	v_mul_lo_u16 v14, v13, 6
	v_mul_lo_u16 v15, v6, 6
	v_and_b32_e32 v34, 0xff, v2
	v_sub_nc_u16 v2, v35, v7
	v_lshlrev_b32_sdwa v5, v74, v4 dst_sel:DWORD dst_unused:UNUSED_PAD src0_sel:DWORD src1_sel:BYTE_0
	v_and_b32_e32 v7, 0xff, v1
	v_sub_nc_u16 v1, v27, v14
	v_sub_nc_u16 v14, v127, v15
	v_and_b32_e32 v36, 0xff, v2
	v_lshlrev_b32_e32 v2, 3, v34
	s_waitcnt lgkmcnt(0)
	s_barrier
	buffer_gl0_inv
	s_clause 0x1
	global_load_dwordx2 v[17:18], v5, s[18:19]
	global_load_dwordx2 v[19:20], v2, s[18:19]
	v_and_b32_e32 v37, 0xff, v1
	v_lshlrev_b32_e32 v1, 3, v7
	v_and_b32_e32 v49, 0xff, v14
	v_lshlrev_b32_e32 v5, 3, v36
	v_mul_i32_i24_e32 v14, 0xe0, v127
	v_mov_b32_e32 v15, 0xe0
	global_load_dwordx2 v[21:22], v1, s[18:19]
	v_lshlrev_b32_e32 v2, 3, v37
	v_lshlrev_b32_e32 v1, 3, v49
	s_clause 0x2
	global_load_dwordx2 v[23:24], v5, s[18:19]
	global_load_dwordx2 v[28:29], v2, s[18:19]
	;; [unrolled: 1-line block ×3, first 2 shown]
	v_mul_i32_i24_e32 v1, 0xe0, v26
	v_mul_i32_i24_e32 v2, 0xe0, v35
	v_mul_i32_i24_e32 v5, 0xe0, v27
	v_mad_u16 v3, v3, 12, v4
	v_and_b32_e32 v51, 0xffff, v9
	v_add3_u32 v16, 0, v1, v48
	v_mad_i32_i24 v1, 0xfffffba0, v124, v11
	v_add3_u32 v27, 0, v2, v48
	v_mad_i32_i24 v2, 0xfffffba0, v126, v25
	v_and_b32_e32 v54, 0xffff, v13
	v_add3_u32 v50, 0, v5, v48
	v_add_nc_u32_e32 v4, 0x2f40, v1
	v_add_nc_u32_e32 v9, 0x3f00, v1
	;; [unrolled: 1-line block ×3, first 2 shown]
	v_add3_u32 v35, 0, v14, v48
	v_and_b32_e32 v52, 0xffff, v10
	v_and_b32_e32 v53, 0xffff, v12
	;; [unrolled: 1-line block ×3, first 2 shown]
	v_mul_u32_u24_sdwa v56, v3, v15 dst_sel:DWORD dst_unused:UNUSED_PAD src0_sel:BYTE_0 src1_sel:DWORD
	ds_read2_b64 v[3:6], v4 offset1:252
	ds_read2_b64 v[9:12], v9 offset1:252
	ds_read_b64 v[25:26], v1
	ds_read_b64 v[38:39], v2
	;; [unrolled: 1-line block ×4, first 2 shown]
	ds_read2_b64 v[13:16], v13 offset1:252
	ds_read_b64 v[44:45], v50
	ds_read_b64 v[46:47], v35
	v_mad_u32_u24 v34, v51, 12, v34
	v_mad_u32_u24 v35, v53, 12, v36
	;; [unrolled: 1-line block ×5, first 2 shown]
	v_mul_u32_u24_e32 v34, 0xe0, v34
	v_mul_u32_u24_e32 v35, 0xe0, v35
	;; [unrolled: 1-line block ×5, first 2 shown]
	v_add3_u32 v49, 0, v34, v48
	v_add3_u32 v51, 0, v35, v48
	;; [unrolled: 1-line block ×6, first 2 shown]
	s_waitcnt vmcnt(0) lgkmcnt(0)
	s_barrier
	buffer_gl0_inv
	v_cmp_gt_u32_e64 s0, 0x54, v0
	s_mov_b32 s6, 0
	v_mul_f32_e32 v34, v18, v4
	v_mul_f32_e32 v18, v18, v3
	v_fmac_f32_e32 v34, v17, v3
	v_fma_f32 v4, v17, v4, -v18
	v_mul_f32_e32 v17, v20, v6
	v_mul_f32_e32 v3, v20, v5
	;; [unrolled: 1-line block ×10, first 2 shown]
	v_fmac_f32_e32 v17, v19, v5
	v_fma_f32 v19, v19, v6, -v3
	v_fmac_f32_e32 v18, v21, v9
	v_fma_f32 v20, v21, v10, -v20
	;; [unrolled: 2-line block ×4, first 2 shown]
	v_sub_f32_e32 v3, v25, v34
	v_sub_f32_e32 v4, v26, v4
	v_fmac_f32_e32 v36, v15, v30
	v_fma_f32 v15, v16, v30, -v31
	v_sub_f32_e32 v9, v38, v17
	v_sub_f32_e32 v10, v39, v19
	;; [unrolled: 1-line block ×8, first 2 shown]
	v_fma_f32 v5, v25, 2.0, -v3
	v_fma_f32 v6, v26, 2.0, -v4
	v_sub_f32_e32 v36, v46, v36
	v_sub_f32_e32 v37, v47, v15
	v_fma_f32 v15, v38, 2.0, -v9
	v_fma_f32 v16, v39, 2.0, -v10
	;; [unrolled: 1-line block ×10, first 2 shown]
	ds_write2_b64 v27, v[5:6], v[3:4] offset1:168
	ds_write2_b64 v49, v[15:16], v[9:10] offset1:168
	;; [unrolled: 1-line block ×6, first 2 shown]
	s_waitcnt lgkmcnt(0)
	s_barrier
	buffer_gl0_inv
	ds_read_b64 v[64:65], v50
	ds_read_b64 v[52:53], v1
	ds_read_b64 v[68:69], v1 offset:2688
	ds_read_b64 v[66:67], v1 offset:5376
	;; [unrolled: 1-line block ×7, first 2 shown]
                                        ; implicit-def: $vgpr49
                                        ; implicit-def: $vgpr47
                                        ; implicit-def: $vgpr45
                                        ; implicit-def: $vgpr41
                                        ; implicit-def: $vgpr43
                                        ; implicit-def: $vgpr51
	s_and_saveexec_b32 s7, s0
	s_cbranch_execz .LBB0_12
; %bb.11:
	ds_read_b64 v[34:35], v2
	ds_read_b64 v[38:39], v1 offset:4704
	ds_read_b64 v[36:37], v1 offset:7392
	;; [unrolled: 1-line block ×8, first 2 shown]
.LBB0_12:
	s_or_b32 exec_lo, exec_lo, s7
	v_mul_lo_u16 v0, v124, 22
	s_load_dwordx2 s[4:5], s[4:5], 0x8
	v_lshrrev_b16 v8, 11, v8
	s_andn2_b32 vcc_lo, exec_lo, s1
	v_lshrrev_b16 v0, 8, v0
	v_mul_lo_u16 v8, v8, 12
	v_mul_lo_u16 v0, v0, 12
	v_sub_nc_u16 v8, v126, v8
	v_sub_nc_u16 v0, v124, v0
	v_and_b32_e32 v8, 0xff, v8
	v_and_b32_e32 v129, 0xff, v0
	v_mul_lo_u32 v79, v32, v8
	v_lshlrev_b32_e32 v20, 6, v8
	v_add_nc_u32_e32 v19, 0x54, v8
	v_lshlrev_b32_e32 v9, 6, v129
	v_add_nc_u32_e32 v132, 12, v129
	v_mul_lo_u32 v10, v32, v129
	v_add_nc_u32_e32 v131, 24, v129
	v_add_nc_u32_e32 v130, 36, v129
	s_clause 0x3
	global_load_dwordx4 v[4:7], v9, s[18:19] offset:48
	global_load_dwordx4 v[0:3], v9, s[18:19] offset:64
	;; [unrolled: 1-line block ×4, first 2 shown]
	v_mul_lo_u32 v9, v32, v132
	v_mul_lo_u32 v14, v32, v131
	v_bfe_u32 v12, v10, 8, 8
	v_mul_lo_u32 v15, v32, v130
	v_lshlrev_b32_sdwa v13, v74, v10 dst_sel:DWORD dst_unused:UNUSED_PAD src0_sel:DWORD src1_sel:BYTE_0
	v_or_b32_e32 v11, 48, v129
	v_add_nc_u32_e32 v134, 60, v129
	v_lshl_or_b32 v12, v12, 3, 0x800
	v_bfe_u32 v16, v9, 8, 8
	s_waitcnt lgkmcnt(0)
	s_clause 0x1
	global_load_dwordx2 v[70:71], v13, s[4:5]
	global_load_dwordx2 v[72:73], v12, s[4:5]
	v_lshlrev_b32_sdwa v12, v74, v9 dst_sel:DWORD dst_unused:UNUSED_PAD src0_sel:DWORD src1_sel:BYTE_0
	v_lshl_or_b32 v13, v16, 3, 0x800
	v_bfe_u32 v16, v14, 8, 8
	v_mul_lo_u32 v11, v32, v11
	v_bfe_u32 v18, v15, 8, 8
	v_mul_lo_u32 v75, v32, v134
	v_lshlrev_b32_sdwa v17, v74, v14 dst_sel:DWORD dst_unused:UNUSED_PAD src0_sel:DWORD src1_sel:BYTE_0
	v_add_nc_u32_e32 v133, 0x48, v129
	s_clause 0x1
	global_load_dwordx2 v[100:101], v12, s[4:5]
	global_load_dwordx2 v[102:103], v13, s[4:5]
	v_lshl_or_b32 v12, v16, 3, 0x800
	v_lshlrev_b32_sdwa v13, v74, v15 dst_sel:DWORD dst_unused:UNUSED_PAD src0_sel:DWORD src1_sel:BYTE_0
	v_add_nc_u32_e32 v135, 0x54, v129
	v_lshl_or_b32 v16, v18, 3, 0x800
	s_clause 0x1
	global_load_dwordx2 v[104:105], v17, s[4:5]
	global_load_dwordx2 v[108:109], v12, s[4:5]
	v_bfe_u32 v12, v11, 8, 8
	v_mul_lo_u32 v76, v32, v133
	s_clause 0x1
	global_load_dwordx2 v[94:95], v13, s[4:5]
	global_load_dwordx2 v[98:99], v16, s[4:5]
	v_bfe_u32 v13, v75, 8, 8
	v_mul_lo_u32 v77, v32, v135
	v_lshlrev_b32_sdwa v16, v74, v11 dst_sel:DWORD dst_unused:UNUSED_PAD src0_sel:DWORD src1_sel:BYTE_0
	v_lshl_or_b32 v12, v12, 3, 0x800
	v_lshlrev_b32_sdwa v17, v74, v75 dst_sel:DWORD dst_unused:UNUSED_PAD src0_sel:DWORD src1_sel:BYTE_0
	v_lshl_or_b32 v13, v13, 3, 0x800
	s_clause 0x1
	global_load_dwordx2 v[106:107], v16, s[4:5]
	global_load_dwordx2 v[110:111], v12, s[4:5]
	v_bfe_u32 v12, v76, 8, 8
	s_clause 0x1
	global_load_dwordx2 v[90:91], v17, s[4:5]
	global_load_dwordx2 v[96:97], v13, s[4:5]
	v_bfe_u32 v13, v77, 8, 8
	v_lshlrev_b32_sdwa v16, v74, v76 dst_sel:DWORD dst_unused:UNUSED_PAD src0_sel:DWORD src1_sel:BYTE_0
	v_lshlrev_b32_sdwa v17, v74, v77 dst_sel:DWORD dst_unused:UNUSED_PAD src0_sel:DWORD src1_sel:BYTE_0
	v_lshl_or_b32 v12, v12, 3, 0x800
	v_bfe_u32 v11, v11, 16, 8
	v_lshl_or_b32 v13, v13, 3, 0x800
	s_clause 0x3
	global_load_dwordx2 v[116:117], v16, s[4:5]
	global_load_dwordx2 v[118:119], v12, s[4:5]
	;; [unrolled: 1-line block ×4, first 2 shown]
	v_or_b32_e32 v12, 0x60, v129
	v_bfe_u32 v10, v10, 16, 8
	v_bfe_u32 v9, v9, 16, 8
	v_lshl_or_b32 v11, v11, 3, 0x1000
	v_bfe_u32 v75, v75, 16, 8
	v_mul_lo_u32 v78, v32, v12
	v_lshl_or_b32 v10, v10, 3, 0x1000
	v_lshl_or_b32 v9, v9, 3, 0x1000
	v_or_b32_e32 v16, 48, v8
	v_add_nc_u32_e32 v17, 60, v8
	v_add_nc_u32_e32 v18, 0x48, v8
	v_bfe_u32 v77, v77, 16, 8
	v_lshl_or_b32 v75, v75, 3, 0x1000
	v_bfe_u32 v12, v78, 8, 8
	v_lshlrev_b32_sdwa v13, v74, v78 dst_sel:DWORD dst_unused:UNUSED_PAD src0_sel:DWORD src1_sel:BYTE_0
	v_bfe_u32 v76, v76, 16, 8
	v_mul_lo_u32 v83, v32, v16
	v_mul_lo_u32 v84, v32, v17
	v_lshl_or_b32 v12, v12, 3, 0x800
	s_clause 0x2
	global_load_dwordx2 v[120:121], v13, s[4:5]
	global_load_dwordx2 v[122:123], v12, s[4:5]
	;; [unrolled: 1-line block ×3, first 2 shown]
	v_add_nc_u32_e32 v11, 12, v8
	s_clause 0x1
	global_load_dwordx2 v[136:137], v10, s[4:5]
	global_load_dwordx2 v[138:139], v9, s[4:5]
	v_bfe_u32 v10, v15, 16, 8
	v_add_nc_u32_e32 v12, 24, v8
	v_mul_lo_u32 v80, v32, v11
	v_bfe_u32 v11, v14, 16, 8
	v_add_nc_u32_e32 v13, 36, v8
	v_lshl_or_b32 v10, v10, 3, 0x1000
	v_or_b32_e32 v8, 0x60, v8
	v_mul_lo_u32 v81, v32, v12
	v_lshl_or_b32 v9, v11, 3, 0x1000
	s_clause 0x1
	global_load_dwordx2 v[140:141], v10, s[4:5]
	global_load_dwordx2 v[142:143], v9, s[4:5]
	v_mul_lo_u32 v82, v32, v13
	v_mul_lo_u32 v85, v32, v18
	;; [unrolled: 1-line block ×4, first 2 shown]
	s_clause 0x3
	global_load_dwordx4 v[8:11], v20, s[18:19] offset:96
	global_load_dwordx4 v[12:15], v20, s[18:19] offset:80
	;; [unrolled: 1-line block ×4, first 2 shown]
	v_lshl_or_b32 v77, v77, 3, 0x1000
	global_load_dwordx2 v[144:145], v75, s[4:5]
	v_lshl_or_b32 v75, v76, 3, 0x1000
	s_clause 0x1
	global_load_dwordx2 v[146:147], v77, s[4:5]
	global_load_dwordx2 v[148:149], v75, s[4:5]
	v_bfe_u32 v150, v84, 8, 8
	v_bfe_u32 v88, v79, 8, 8
	v_lshlrev_b32_sdwa v153, v74, v80 dst_sel:DWORD dst_unused:UNUSED_PAD src0_sel:DWORD src1_sel:BYTE_0
	v_bfe_u32 v76, v80, 8, 8
	v_bfe_u32 v80, v80, 16, 8
	v_lshl_or_b32 v169, v150, 3, 0x800
	v_lshlrev_b32_sdwa v152, v74, v79 dst_sel:DWORD dst_unused:UNUSED_PAD src0_sel:DWORD src1_sel:BYTE_0
	v_bfe_u32 v79, v79, 16, 8
	v_bfe_u32 v75, v81, 8, 8
	;; [unrolled: 1-line block ×3, first 2 shown]
	v_lshl_or_b32 v88, v88, 3, 0x800
	v_lshlrev_b32_sdwa v154, v74, v81 dst_sel:DWORD dst_unused:UNUSED_PAD src0_sel:DWORD src1_sel:BYTE_0
	v_lshlrev_b32_sdwa v155, v74, v82 dst_sel:DWORD dst_unused:UNUSED_PAD src0_sel:DWORD src1_sel:BYTE_0
	v_bfe_u32 v81, v82, 8, 8
	v_bfe_u32 v82, v82, 16, 8
	v_lshlrev_b32_sdwa v156, v74, v83 dst_sel:DWORD dst_unused:UNUSED_PAD src0_sel:DWORD src1_sel:BYTE_0
	v_bfe_u32 v89, v83, 8, 8
	v_bfe_u32 v83, v83, 16, 8
	v_lshlrev_b32_sdwa v157, v74, v84 dst_sel:DWORD dst_unused:UNUSED_PAD src0_sel:DWORD src1_sel:BYTE_0
	v_bfe_u32 v84, v84, 16, 8
	v_lshlrev_b32_sdwa v162, v74, v86 dst_sel:DWORD dst_unused:UNUSED_PAD src0_sel:DWORD src1_sel:BYTE_0
	v_lshlrev_b32_sdwa v163, v74, v87 dst_sel:DWORD dst_unused:UNUSED_PAD src0_sel:DWORD src1_sel:BYTE_0
	v_lshl_or_b32 v79, v79, 3, 0x1000
	v_lshl_or_b32 v75, v75, 3, 0x800
	;; [unrolled: 1-line block ×8, first 2 shown]
	s_waitcnt vmcnt(33)
	v_mul_f32_e32 v158, v5, v69
	v_mul_f32_e32 v5, v5, v68
	s_waitcnt vmcnt(32)
	v_mul_f32_e32 v171, v1, v65
	v_mul_f32_e32 v1, v1, v64
	;; [unrolled: 1-line block ×4, first 2 shown]
	v_fma_f32 v160, v4, v69, -v5
	v_bfe_u32 v69, v78, 16, 8
	v_fmac_f32_e32 v171, v0, v64
	v_fma_f32 v174, v0, v65, -v1
	v_mul_f32_e32 v0, v3, v62
	v_mul_f32_e32 v7, v7, v66
	v_lshl_or_b32 v69, v69, 3, 0x1000
	v_fmac_f32_e32 v158, v4, v68
	v_lshlrev_b32_sdwa v4, v74, v85 dst_sel:DWORD dst_unused:UNUSED_PAD src0_sel:DWORD src1_sel:BYTE_0
	v_fma_f32 v178, v2, v63, -v0
	s_waitcnt vmcnt(31)
	v_mul_f32_e32 v0, v29, v60
	global_load_dwordx2 v[150:151], v69, s[4:5]
	v_lshl_or_b32 v74, v76, 3, 0x800
	v_lshl_or_b32 v76, v80, 3, 0x1000
	v_fmac_f32_e32 v175, v2, v62
	v_fma_f32 v182, v28, v61, -v0
	s_waitcnt vmcnt(31)
	v_mul_f32_e32 v0, v27, v54
	v_mul_f32_e32 v2, v31, v58
	v_bfe_u32 v5, v85, 8, 8
	v_bfe_u32 v68, v85, 16, 8
	v_fmac_f32_e32 v159, v6, v66
	v_fma_f32 v185, v26, v55, -v0
	s_waitcnt vmcnt(29)
	v_mul_f32_e32 v0, v71, v73
	v_fma_f32 v161, v6, v67, -v7
	v_bfe_u32 v6, v86, 8, 8
	v_bfe_u32 v7, v86, 16, 8
	;; [unrolled: 1-line block ×4, first 2 shown]
	s_clause 0x7
	global_load_dwordx2 v[88:89], v88, s[4:5]
	global_load_dwordx2 v[86:87], v79, s[4:5]
	;; [unrolled: 1-line block ×8, first 2 shown]
	v_fma_f32 v154, v70, v72, -v0
	s_waitcnt vmcnt(35)
	v_mul_f32_e32 v0, v101, v103
	v_fma_f32 v184, v30, v59, -v2
	v_mul_f32_e32 v103, v100, v103
	s_waitcnt vmcnt(33)
	v_mul_f32_e32 v2, v105, v109
	v_mul_f32_e32 v179, v29, v61
	v_fma_f32 v100, v100, v102, -v0
	s_waitcnt vmcnt(31)
	v_mul_f32_e32 v0, v95, v99
	v_fmac_f32_e32 v103, v101, v102
	v_mul_f32_e32 v99, v94, v99
	v_fma_f32 v101, v104, v108, -v2
	s_waitcnt vmcnt(29)
	v_mul_f32_e32 v2, v107, v111
	v_fma_f32 v94, v94, v98, -v0
	s_waitcnt vmcnt(27)
	v_mul_f32_e32 v0, v91, v97
	v_mul_f32_e32 v180, v31, v59
	;; [unrolled: 1-line block ×7, first 2 shown]
	v_fmac_f32_e32 v99, v95, v98
	v_mul_f32_e32 v95, v90, v97
	v_fma_f32 v97, v106, v110, -v2
	s_waitcnt vmcnt(25)
	v_mul_f32_e32 v2, v117, v119
	v_lshl_or_b32 v173, v6, 3, 0x800
	v_lshl_or_b32 v5, v5, 3, 0x800
	;; [unrolled: 1-line block ×5, first 2 shown]
	v_fma_f32 v104, v90, v96, -v0
	s_waitcnt vmcnt(23)
	v_mul_f32_e32 v90, v113, v115
	v_lshl_or_b32 v177, v67, 3, 0x1000
	v_fmac_f32_e32 v179, v28, v60
	v_fmac_f32_e32 v180, v30, v58
	;; [unrolled: 1-line block ×3, first 2 shown]
	v_fma_f32 v153, v24, v57, -v3
	v_fmac_f32_e32 v183, v26, v54
	v_fmac_f32_e32 v186, v71, v72
	s_clause 0x3
	global_load_dwordx2 v[70:71], v155, s[4:5]
	global_load_dwordx2 v[72:73], v165, s[4:5]
	global_load_dwordx2 v[64:65], v166, s[4:5]
	global_load_dwordx2 v[66:67], v156, s[4:5]
	v_fmac_f32_e32 v109, v105, v108
	s_clause 0x7
	global_load_dwordx2 v[68:69], v167, s[4:5]
	global_load_dwordx2 v[60:61], v168, s[4:5]
	;; [unrolled: 1-line block ×8, first 2 shown]
	v_fma_f32 v105, v116, v118, -v2
	s_clause 0x5
	global_load_dwordx2 v[30:31], v162, s[4:5]
	global_load_dwordx2 v[54:55], v173, s[4:5]
	;; [unrolled: 1-line block ×6, first 2 shown]
	v_mul_f32_e32 v102, v106, v111
	v_fmac_f32_e32 v95, v91, v96
	v_fma_f32 v106, v112, v114, -v90
	global_load_dwordx2 v[90:91], v152, s[4:5]
	s_waitcnt vmcnt(40)
	v_mul_f32_e32 v108, v120, v123
	v_fmac_f32_e32 v102, v107, v110
	v_mul_f32_e32 v107, v121, v123
	v_mul_f32_e32 v98, v116, v119
	;; [unrolled: 1-line block ×3, first 2 shown]
	v_fmac_f32_e32 v108, v121, v122
	v_add_f32_e32 v110, v158, v183
	v_fma_f32 v107, v120, v122, -v107
	s_waitcnt vmcnt(38)
	v_mul_f32_e32 v120, v186, v137
	v_mul_f32_e32 v122, v154, v137
	v_fmac_f32_e32 v98, v117, v118
	v_fmac_f32_e32 v96, v113, v114
	v_add_f32_e32 v111, v160, v185
	v_fma_f32 v120, v136, v154, -v120
	v_fmac_f32_e32 v122, v136, v186
	s_waitcnt vmcnt(37)
	v_mul_f32_e32 v136, v103, v139
	v_mul_f32_e32 v139, v100, v139
	v_add_f32_e32 v112, v159, v181
	v_add_f32_e32 v113, v161, v153
	;; [unrolled: 1-line block ×3, first 2 shown]
	v_fma_f32 v136, v138, v100, -v136
	s_waitcnt vmcnt(35)
	v_mul_f32_e32 v100, v109, v143
	v_fmac_f32_e32 v139, v138, v103
	v_mul_f32_e32 v103, v101, v143
	v_sub_f32_e32 v152, v178, v182
	v_sub_f32_e32 v114, v158, v183
	v_fma_f32 v156, v142, v101, -v100
	v_mul_f32_e32 v100, v99, v141
	v_fmac_f32_e32 v103, v142, v109
	v_mul_f32_e32 v101, v94, v141
	v_add_f32_e32 v115, v171, v180
	v_sub_f32_e32 v116, v160, v185
	v_fma_f32 v142, v140, v94, -v100
	v_mul_f32_e32 v94, v102, v93
	v_fmac_f32_e32 v101, v140, v99
	v_mul_f32_e32 v99, v97, v93
	v_add_f32_e32 v117, v174, v184
	v_sub_f32_e32 v119, v161, v153
	v_fma_f32 v157, v92, v97, -v94
	s_waitcnt vmcnt(30)
	v_mul_f32_e32 v94, v95, v145
	v_mul_f32_e32 v145, v104, v145
	v_sub_f32_e32 v137, v175, v179
	v_add_f32_e32 v153, v178, v182
	v_add_f32_e32 v155, v112, v110
	;; [unrolled: 1-line block ×3, first 2 shown]
	v_mul_f32_e32 v140, 0xbf248dbb, v152
	v_fmac_f32_e32 v99, v92, v102
	v_fmamk_f32 v92, v123, 0x3f441b7d, v52
	v_fma_f32 v158, v144, v104, -v94
	s_waitcnt vmcnt(28)
	v_mul_f32_e32 v94, v98, v149
	v_fmac_f32_e32 v145, v144, v95
	v_mul_f32_e32 v95, v105, v149
	v_sub_f32_e32 v154, v174, v184
	v_add_f32_e32 v143, v115, v52
	v_add_f32_e32 v141, v152, v116
	v_mul_f32_e32 v97, 0xbf248dbb, v137
	v_fmamk_f32 v100, v153, 0x3f441b7d, v53
	v_fma_f32 v144, v148, v105, -v94
	v_fmac_f32_e32 v95, v148, v98
	v_add_f32_e32 v105, v117, v138
	v_add_f32_e32 v148, v123, v155
	v_fmac_f32_e32 v140, 0x3f7c1c5c, v116
	v_fmac_f32_e32 v92, 0x3e31d0d4, v110
	v_sub_f32_e32 v118, v159, v181
	v_sub_f32_e32 v121, v171, v180
	v_add_f32_e32 v93, v117, v53
	v_add_f32_e32 v94, v115, v155
	v_mul_f32_e32 v104, 0x3f7c1c5c, v137
	v_add_f32_e32 v138, v153, v138
	v_add_f32_e32 v105, v178, v105
	v_fmac_f32_e32 v143, -0.5, v148
	v_sub_f32_e32 v141, v141, v119
	v_fmac_f32_e32 v97, 0x3f7c1c5c, v114
	v_fmac_f32_e32 v100, 0x3e31d0d4, v111
	;; [unrolled: 1-line block ×3, first 2 shown]
	v_fmac_f32_e32 v92, -0.5, v115
	v_add_f32_e32 v109, v137, v114
	v_mul_f32_e32 v102, 0x3f248dbb, v114
	v_mul_f32_e32 v98, 0x3f248dbb, v116
	v_add_f32_e32 v94, v175, v94
	v_fmamk_f32 v149, v110, 0x3f441b7d, v52
	v_fmac_f32_e32 v93, -0.5, v138
	v_fmamk_f32 v138, v111, 0x3f441b7d, v53
	v_fma_f32 v159, 0xbf248dbb, v118, -v104
	v_fmac_f32_e32 v97, 0xbf5db3d7, v121
	v_fmac_f32_e32 v100, -0.5, v117
	v_mul_f32_e32 v104, 0x3f5db3d7, v141
	v_add_f32_e32 v105, v182, v105
	v_fmac_f32_e32 v143, 0xbf5db3d7, v141
	v_mul_f32_e32 v141, v106, v147
	v_fmac_f32_e32 v140, 0x3eaf1d44, v119
	v_fmac_f32_e32 v92, 0xbf708fb2, v112
	v_mul_f32_e32 v155, 0x3f7c1c5c, v152
	v_fmamk_f32 v148, v112, 0x3f441b7d, v52
	v_sub_f32_e32 v109, v109, v118
	v_fmac_f32_e32 v102, 0x3f7c1c5c, v118
	v_fmac_f32_e32 v149, 0x3e31d0d4, v112
	;; [unrolled: 1-line block ×4, first 2 shown]
	v_add_f32_e32 v94, v179, v94
	v_mul_f32_e32 v160, v96, v147
	v_fmac_f32_e32 v97, 0x3eaf1d44, v118
	v_fmac_f32_e32 v100, 0xbf708fb2, v113
	;; [unrolled: 1-line block ×3, first 2 shown]
	v_add_f32_e32 v96, v53, v105
	v_sub_f32_e32 v92, v92, v140
	v_fmac_f32_e32 v53, 0x3f441b7d, v113
	v_fma_f32 v155, 0xbf248dbb, v119, -v155
	v_fmac_f32_e32 v148, 0x3e31d0d4, v123
	v_fmac_f32_e32 v102, 0x3f5db3d7, v121
	;; [unrolled: 1-line block ×3, first 2 shown]
	v_mul_f32_e32 v121, 0x3f5db3d7, v109
	v_fmac_f32_e32 v93, 0x3f5db3d7, v109
	v_fma_f32 v112, v146, v106, -v160
	v_add_f32_e32 v52, v52, v94
	v_add_f32_e32 v105, v97, v100
	v_mul_f32_e32 v106, v96, v122
	v_fma_f32 v140, 2.0, v140, v92
	v_fmac_f32_e32 v98, 0x3f5db3d7, v154
	v_fmac_f32_e32 v149, -0.5, v115
	v_fmac_f32_e32 v138, -0.5, v117
	v_fmac_f32_e32 v53, 0x3e31d0d4, v153
	v_fma_f32 v97, -2.0, v97, v105
	v_fmac_f32_e32 v106, v52, v120
	v_fmac_f32_e32 v155, 0x3f5db3d7, v154
	v_fmac_f32_e32 v148, -0.5, v115
	v_fmac_f32_e32 v98, 0x3eaf1d44, v152
	v_fmac_f32_e32 v149, 0xbf708fb2, v123
	;; [unrolled: 1-line block ×4, first 2 shown]
	v_fmac_f32_e32 v53, -0.5, v117
	v_mul_f32_e32 v100, v93, v101
	v_fmac_f32_e32 v159, 0x3eaf1d44, v114
	v_fmac_f32_e32 v155, 0x3eaf1d44, v116
	;; [unrolled: 1-line block ×5, first 2 shown]
	v_sub_f32_e32 v110, v148, v155
	v_add_f32_e32 v53, v159, v53
	v_fma_f32 v111, -2.0, v159, v53
	s_waitcnt vmcnt(27)
	v_mul_f32_e32 v109, v108, v151
	v_mul_f32_e32 v119, v107, v151
	v_fma_f32 v118, v150, v107, -v109
	v_fmac_f32_e32 v119, v150, v108
	v_fma_f32 v108, 2.0, v104, v143
	v_fma_f32 v109, -2.0, v121, v93
	v_mul_f32_e32 v107, v143, v101
	v_mul_f32_e32 v121, v52, v122
	;; [unrolled: 1-line block ×7, first 2 shown]
	v_fma_f32 v101, v93, v142, -v107
	v_fma_f32 v107, v96, v120, -v121
	;; [unrolled: 1-line block ×3, first 2 shown]
	v_sub_f32_e32 v52, v149, v98
	v_add_f32_e32 v96, v102, v138
	v_fmac_f32_e32 v104, v92, v156
	v_fma_f32 v95, v109, v144, -v103
	v_fmac_f32_e32 v94, v108, v144
	v_mul_f32_e32 v92, v97, v141
	v_mul_f32_e32 v97, v52, v139
	;; [unrolled: 1-line block ×3, first 2 shown]
	v_fma_f32 v103, 2.0, v98, v52
	v_fma_f32 v105, v105, v156, -v122
	v_fmac_f32_e32 v92, v140, v112
	v_fma_f32 v109, v96, v136, -v97
	v_fma_f32 v97, -2.0, v102, v96
	v_mul_f32_e32 v98, v103, v119
	v_fmac_f32_e32 v108, v52, v136
	v_fma_f32 v52, 2.0, v155, v110
	v_mul_f32_e32 v112, v110, v99
	v_mul_f32_e32 v96, v97, v119
	v_fma_f32 v97, v97, v118, -v98
	v_mul_f32_e32 v102, v53, v99
	v_mul_f32_e32 v99, v52, v145
	;; [unrolled: 1-line block ×3, first 2 shown]
	v_fmac_f32_e32 v96, v103, v118
	v_fma_f32 v103, v53, v157, -v112
	v_fmac_f32_e32 v102, v110, v157
	v_fma_f32 v99, v111, v158, -v99
	v_fmac_f32_e32 v98, v52, v158
	s_cbranch_vccnz .LBB0_14
; %bb.13:
	v_mad_u64_u32 v[52:53], null, s8, v128, 0
	v_mad_u64_u32 v[110:111], null, s12, v129, 0
	s_lshl_b64 s[4:5], s[2:3], 3
	v_mad_u64_u32 v[118:119], null, s12, v130, 0
	s_add_u32 s1, s16, s4
	s_waitcnt vmcnt(5)
	v_mad_u64_u32 v[112:113], null, s9, v128, v[53:54]
	v_mad_u64_u32 v[113:114], null, s12, v132, 0
	s_addc_u32 s4, s17, s5
	v_add_nc_u32_e32 v122, 0x60, v129
	s_and_b32 s6, s0, exec_lo
	v_mad_u64_u32 v[115:116], null, s13, v129, v[111:112]
	v_mov_b32_e32 v53, v112
	v_mad_u64_u32 v[116:117], null, s12, v131, 0
	v_mov_b32_e32 v112, v114
	v_lshlrev_b64 v[52:53], 3, v[52:53]
	v_mov_b32_e32 v111, v115
	v_mad_u64_u32 v[114:115], null, s13, v132, v[112:113]
	v_mov_b32_e32 v112, v117
	v_lshlrev_b64 v[110:111], 3, v[110:111]
	v_add_co_u32 v52, vcc_lo, s1, v52
	v_add_co_ci_u32_e32 v53, vcc_lo, s4, v53, vcc_lo
	v_mov_b32_e32 v115, v119
	v_add_co_u32 v110, vcc_lo, v52, v110
	v_add_co_ci_u32_e32 v111, vcc_lo, v53, v111, vcc_lo
	v_mad_u64_u32 v[119:120], null, s13, v131, v[112:113]
	v_lshlrev_b64 v[112:113], 3, v[113:114]
	global_store_dwordx2 v[110:111], v[106:107], off
	v_mad_u64_u32 v[110:111], null, s13, v130, v[115:116]
	v_add_nc_u32_e32 v120, 48, v129
	v_add_co_u32 v111, vcc_lo, v52, v112
	v_mov_b32_e32 v117, v119
	v_mad_u64_u32 v[114:115], null, s12, v120, 0
	v_add_co_ci_u32_e32 v112, vcc_lo, v53, v113, vcc_lo
	v_mov_b32_e32 v119, v110
	global_store_dwordx2 v[111:112], v[108:109], off
	v_mov_b32_e32 v110, v115
	v_lshlrev_b64 v[111:112], 3, v[118:119]
	v_lshlrev_b64 v[115:116], 3, v[116:117]
	v_mad_u64_u32 v[117:118], null, s13, v120, v[110:111]
	v_add_co_u32 v118, vcc_lo, v52, v115
	v_add_co_ci_u32_e32 v119, vcc_lo, v53, v116, vcc_lo
	v_add_co_u32 v110, vcc_lo, v52, v111
	v_mov_b32_e32 v115, v117
	v_add_co_ci_u32_e32 v111, vcc_lo, v53, v112, vcc_lo
	v_mad_u64_u32 v[112:113], null, s12, v134, 0
	v_lshlrev_b64 v[114:115], 3, v[114:115]
	global_store_dwordx2 v[118:119], v[104:105], off
	global_store_dwordx2 v[110:111], v[100:101], off
	v_mad_u64_u32 v[110:111], null, s12, v133, 0
	v_add_co_u32 v114, vcc_lo, v52, v114
	v_add_co_ci_u32_e32 v115, vcc_lo, v53, v115, vcc_lo
	v_mad_u64_u32 v[116:117], null, s13, v134, v[113:114]
	v_mad_u64_u32 v[119:120], null, s13, v133, v[111:112]
	;; [unrolled: 1-line block ×4, first 2 shown]
	v_mov_b32_e32 v113, v116
	global_store_dwordx2 v[114:115], v[102:103], off
	v_mov_b32_e32 v111, v119
	v_mov_b32_e32 v114, v118
	v_lshlrev_b64 v[112:113], 3, v[112:113]
	v_mov_b32_e32 v115, v121
	v_lshlrev_b64 v[110:111], 3, v[110:111]
	v_mad_u64_u32 v[118:119], null, s13, v135, v[114:115]
	v_mad_u64_u32 v[114:115], null, s13, v122, v[115:116]
	v_add_co_u32 v112, vcc_lo, v52, v112
	v_add_co_ci_u32_e32 v113, vcc_lo, v53, v113, vcc_lo
	v_add_co_u32 v110, vcc_lo, v52, v110
	v_add_co_ci_u32_e32 v111, vcc_lo, v53, v111, vcc_lo
	v_mov_b32_e32 v121, v114
	global_store_dwordx2 v[112:113], v[98:99], off
	v_lshlrev_b64 v[112:113], 3, v[117:118]
	global_store_dwordx2 v[110:111], v[94:95], off
	v_lshlrev_b64 v[110:111], 3, v[120:121]
	v_add_co_u32 v112, vcc_lo, v52, v112
	v_add_co_ci_u32_e32 v113, vcc_lo, v53, v113, vcc_lo
	v_add_co_u32 v110, vcc_lo, v52, v110
	v_add_co_ci_u32_e32 v111, vcc_lo, v53, v111, vcc_lo
	global_store_dwordx2 v[112:113], v[92:93], off
	global_store_dwordx2 v[110:111], v[96:97], off
	s_cbranch_execz .LBB0_15
	s_branch .LBB0_18
.LBB0_14:
                                        ; implicit-def: $vgpr52_vgpr53
.LBB0_15:
	s_mov_b32 s1, exec_lo
                                        ; implicit-def: $vgpr52_vgpr53
	v_cmpx_gt_u64_e64 s[14:15], v[32:33]
	s_cbranch_execz .LBB0_17
; %bb.16:
	v_mad_u64_u32 v[32:33], null, s8, v128, 0
	v_mad_u64_u32 v[52:53], null, s12, v129, 0
	s_lshl_b64 s[2:3], s[2:3], 3
	v_mad_u64_u32 v[116:117], null, s12, v130, 0
	s_add_u32 s2, s16, s2
	v_mad_u64_u32 v[110:111], null, s9, v128, v[33:34]
	v_mad_u64_u32 v[111:112], null, s12, v132, 0
	s_waitcnt vmcnt(5)
	v_mad_u64_u32 v[113:114], null, s13, v129, v[53:54]
	v_mad_u64_u32 v[114:115], null, s12, v131, 0
	v_mov_b32_e32 v33, v110
	s_addc_u32 s3, s17, s3
	v_mov_b32_e32 v110, v112
	s_and_b32 s0, s0, exec_lo
	v_mov_b32_e32 v53, v113
	v_lshlrev_b64 v[32:33], 3, v[32:33]
	v_mov_b32_e32 v113, v115
	v_mad_u64_u32 v[118:119], null, s13, v132, v[110:111]
	v_lshlrev_b64 v[119:120], 3, v[52:53]
	v_add_co_u32 v52, vcc_lo, s2, v32
	v_add_co_ci_u32_e32 v53, vcc_lo, s3, v33, vcc_lo
	v_mov_b32_e32 v32, v117
	v_add_co_u32 v119, vcc_lo, v52, v119
	v_add_co_ci_u32_e32 v120, vcc_lo, v53, v120, vcc_lo
	v_mov_b32_e32 v112, v118
	v_mad_u64_u32 v[117:118], null, s13, v131, v[113:114]
	v_add_nc_u32_e32 v113, 48, v129
	global_store_dwordx2 v[119:120], v[106:107], off
	v_lshlrev_b64 v[106:107], 3, v[111:112]
	v_mad_u64_u32 v[32:33], null, s13, v130, v[32:33]
	v_mad_u64_u32 v[110:111], null, s12, v113, 0
	v_mov_b32_e32 v115, v117
	v_add_co_u32 v106, vcc_lo, v52, v106
	v_add_co_ci_u32_e32 v107, vcc_lo, v53, v107, vcc_lo
	v_mov_b32_e32 v117, v32
	v_mov_b32_e32 v32, v111
	v_lshlrev_b64 v[111:112], 3, v[114:115]
	global_store_dwordx2 v[106:107], v[108:109], off
	s_andn2_b32 s2, s6, exec_lo
	v_lshlrev_b64 v[106:107], 3, v[116:117]
	v_mad_u64_u32 v[32:33], null, s13, v113, v[32:33]
	v_add_co_u32 v108, vcc_lo, v52, v111
	v_add_co_ci_u32_e32 v109, vcc_lo, v53, v112, vcc_lo
	v_add_co_u32 v106, vcc_lo, v52, v106
	v_add_co_ci_u32_e32 v107, vcc_lo, v53, v107, vcc_lo
	v_mov_b32_e32 v111, v32
	v_mad_u64_u32 v[32:33], null, s12, v134, 0
	global_store_dwordx2 v[108:109], v[104:105], off
	global_store_dwordx2 v[106:107], v[100:101], off
	v_mad_u64_u32 v[100:101], null, s12, v133, 0
	v_lshlrev_b64 v[104:105], 3, v[110:111]
	v_add_nc_u32_e32 v112, 0x60, v129
	v_mad_u64_u32 v[106:107], null, s13, v134, v[33:34]
	v_mad_u64_u32 v[107:108], null, s12, v135, 0
	v_mov_b32_e32 v33, v101
	v_add_co_u32 v104, vcc_lo, v52, v104
	v_add_co_ci_u32_e32 v105, vcc_lo, v53, v105, vcc_lo
	v_mad_u64_u32 v[109:110], null, s13, v133, v[33:34]
	v_mad_u64_u32 v[110:111], null, s12, v112, 0
	global_store_dwordx2 v[104:105], v[102:103], off
	v_mov_b32_e32 v102, v108
	v_mov_b32_e32 v33, v106
	s_or_b32 s6, s2, s0
	v_mov_b32_e32 v101, v109
	v_mov_b32_e32 v103, v111
	v_lshlrev_b64 v[32:33], 3, v[32:33]
	v_lshlrev_b64 v[100:101], 3, v[100:101]
	v_mad_u64_u32 v[104:105], null, s13, v135, v[102:103]
	v_add_co_u32 v32, vcc_lo, v52, v32
	v_add_co_ci_u32_e32 v33, vcc_lo, v53, v33, vcc_lo
	v_add_co_u32 v100, vcc_lo, v52, v100
	v_mad_u64_u32 v[102:103], null, s13, v112, v[103:104]
	v_mov_b32_e32 v108, v104
	v_add_co_ci_u32_e32 v101, vcc_lo, v53, v101, vcc_lo
	global_store_dwordx2 v[32:33], v[98:99], off
	v_lshlrev_b64 v[32:33], 3, v[107:108]
	v_mov_b32_e32 v111, v102
	global_store_dwordx2 v[100:101], v[94:95], off
	v_lshlrev_b64 v[94:95], 3, v[110:111]
	v_add_co_u32 v32, vcc_lo, v52, v32
	v_add_co_ci_u32_e32 v33, vcc_lo, v53, v33, vcc_lo
	v_add_co_u32 v94, vcc_lo, v52, v94
	v_add_co_ci_u32_e32 v95, vcc_lo, v53, v95, vcc_lo
	global_store_dwordx2 v[32:33], v[92:93], off
	global_store_dwordx2 v[94:95], v[96:97], off
.LBB0_17:
	s_or_b32 exec_lo, exec_lo, s1
.LBB0_18:
	s_and_saveexec_b32 s0, s6
	s_cbranch_execnz .LBB0_20
; %bb.19:
	s_endpgm
.LBB0_20:
	v_mul_f32_e32 v32, v39, v21
	v_mul_f32_e32 v21, v38, v21
	v_mul_f32_e32 v33, v37, v23
	v_mul_f32_e32 v23, v36, v23
	v_mul_f32_e32 v92, v49, v17
	v_mul_f32_e32 v17, v48, v17
	v_fmac_f32_e32 v32, v38, v20
	v_fma_f32 v20, v39, v20, -v21
	v_fmac_f32_e32 v33, v36, v22
	v_fma_f32 v21, v37, v22, -v23
	;; [unrolled: 2-line block ×3, first 2 shown]
	v_mul_f32_e32 v17, v47, v19
	v_mul_f32_e32 v19, v46, v19
	;; [unrolled: 1-line block ×5, first 2 shown]
	v_fmac_f32_e32 v17, v46, v18
	v_fma_f32 v18, v47, v18, -v19
	v_fmac_f32_e32 v22, v50, v12
	v_fma_f32 v12, v51, v12, -v13
	v_mul_f32_e32 v13, v45, v11
	v_mul_f32_e32 v11, v44, v11
	;; [unrolled: 1-line block ×5, first 2 shown]
	v_fmac_f32_e32 v13, v44, v10
	v_fma_f32 v10, v45, v10, -v11
	v_fmac_f32_e32 v19, v40, v8
	v_fma_f32 v8, v41, v8, -v9
	;; [unrolled: 2-line block ×3, first 2 shown]
	v_sub_f32_e32 v9, v32, v13
	v_sub_f32_e32 v14, v20, v10
	v_add_f32_e32 v13, v32, v13
	v_sub_f32_e32 v15, v33, v19
	v_sub_f32_e32 v32, v21, v8
	v_add_f32_e32 v10, v20, v10
	v_add_f32_e32 v19, v33, v19
	;; [unrolled: 1-line block ×3, first 2 shown]
	v_sub_f32_e32 v38, v16, v11
	v_add_f32_e32 v21, v92, v23
	v_add_f32_e32 v11, v16, v11
	;; [unrolled: 1-line block ×6, first 2 shown]
	v_mul_f32_e32 v36, 0x3f248dbb, v9
	v_mul_f32_e32 v37, 0x3f248dbb, v14
	v_sub_f32_e32 v20, v92, v23
	v_sub_f32_e32 v23, v17, v22
	v_add_f32_e32 v51, v40, v47
	v_add_f32_e32 v93, v41, v49
	;; [unrolled: 1-line block ×4, first 2 shown]
	v_fmac_f32_e32 v36, 0x3f7c1c5c, v15
	v_fmac_f32_e32 v37, 0x3f7c1c5c, v32
	v_sub_f32_e32 v39, v18, v12
	v_mul_f32_e32 v44, 0xbf248dbb, v23
	v_fmamk_f32 v45, v41, 0x3f441b7d, v35
	v_add_f32_e32 v17, v17, v47
	v_add_f32_e32 v18, v18, v49
	v_fmac_f32_e32 v36, 0x3f5db3d7, v20
	v_fmac_f32_e32 v37, 0x3f5db3d7, v38
	v_fmamk_f32 v43, v40, 0x3f441b7d, v34
	v_fmac_f32_e32 v44, 0x3f7c1c5c, v9
	v_fmac_f32_e32 v45, 0x3e31d0d4, v10
	v_add_f32_e32 v17, v22, v17
	v_add_f32_e32 v12, v12, v18
	v_fmamk_f32 v33, v13, 0x3f441b7d, v34
	v_fmamk_f32 v16, v10, 0x3f441b7d, v35
	v_fmac_f32_e32 v36, 0x3eaf1d44, v23
	v_fmac_f32_e32 v37, 0x3eaf1d44, v39
	v_mul_f32_e32 v42, 0xbf248dbb, v39
	v_fmac_f32_e32 v43, 0x3e31d0d4, v13
	v_fmac_f32_e32 v44, 0xbf5db3d7, v20
	v_fmac_f32_e32 v45, -0.5, v11
	v_add_f32_e32 v46, v39, v14
	v_add_f32_e32 v48, v23, v9
	;; [unrolled: 1-line block ×4, first 2 shown]
	v_mul_f32_e32 v23, 0x3f7c1c5c, v23
	v_mul_f32_e32 v39, 0x3f7c1c5c, v39
	v_add_f32_e32 v17, v34, v17
	v_fmac_f32_e32 v34, 0x3f441b7d, v19
	v_add_f32_e32 v12, v35, v12
	v_fmac_f32_e32 v35, 0x3f441b7d, v8
	v_fmac_f32_e32 v16, 0x3e31d0d4, v8
	v_fmac_f32_e32 v43, -0.5, v21
	v_fmac_f32_e32 v44, 0x3eaf1d44, v15
	v_fmac_f32_e32 v45, 0xbf708fb2, v8
	v_sub_f32_e32 v48, v48, v15
	v_fma_f32 v15, 0xbf248dbb, v15, -v23
	v_fma_f32 v18, 0xbf248dbb, v32, -v39
	v_fmac_f32_e32 v34, 0x3e31d0d4, v40
	s_waitcnt vmcnt(0)
	v_mul_f32_e32 v8, v91, v89
	v_fmac_f32_e32 v35, 0x3e31d0d4, v41
	v_fmac_f32_e32 v33, 0x3e31d0d4, v19
	;; [unrolled: 1-line block ×5, first 2 shown]
	v_fmac_f32_e32 v34, -0.5, v21
	v_mul_f32_e32 v19, v90, v89
	v_fma_f32 v8, v90, v88, -v8
	v_fmac_f32_e32 v35, -0.5, v11
	v_fmac_f32_e32 v16, -0.5, v11
	v_fmac_f32_e32 v42, 0x3f7c1c5c, v14
	v_fmac_f32_e32 v18, 0x3eaf1d44, v14
	;; [unrolled: 1-line block ×5, first 2 shown]
	v_mul_f32_e32 v9, v8, v87
	v_fmac_f32_e32 v35, 0xbf708fb2, v10
	v_mul_f32_e32 v11, v79, v81
	v_fmac_f32_e32 v33, -0.5, v21
	v_fmac_f32_e32 v42, 0xbf5db3d7, v38
	v_sub_f32_e32 v20, v34, v18
	v_mul_f32_e32 v10, v19, v87
	v_fmac_f32_e32 v9, v86, v19
	v_add_f32_e32 v19, v15, v35
	v_mul_f32_e32 v13, v78, v81
	v_mul_f32_e32 v14, v83, v85
	v_fma_f32 v11, v78, v80, -v11
	v_fmac_f32_e32 v33, 0xbf708fb2, v40
	v_fmac_f32_e32 v16, 0xbf708fb2, v41
	;; [unrolled: 1-line block ×3, first 2 shown]
	v_sub_f32_e32 v46, v46, v32
	v_fma_f32 v23, 2.0, v18, v20
	v_fma_f32 v10, v86, v8, -v10
	v_mul_f32_e32 v8, v12, v9
	v_fma_f32 v32, -2.0, v15, v19
	v_fmac_f32_e32 v13, v79, v80
	v_mul_f32_e32 v15, v82, v85
	v_fma_f32 v14, v82, v84, -v14
	v_mul_f32_e32 v18, v11, v77
	v_sub_f32_e32 v33, v33, v37
	v_add_f32_e32 v16, v36, v16
	v_fmac_f32_e32 v8, v17, v10
	v_mul_f32_e32 v9, v17, v9
	v_mul_f32_e32 v17, v13, v77
	v_fmac_f32_e32 v15, v83, v84
	v_mul_f32_e32 v34, v14, v75
	v_fmac_f32_e32 v18, v76, v13
	v_fma_f32 v9, v12, v10, -v9
	v_fma_f32 v11, v76, v11, -v17
	v_mul_f32_e32 v12, v15, v75
	v_fmac_f32_e32 v34, v74, v15
	v_mul_f32_e32 v10, v16, v18
	v_mul_f32_e32 v13, v33, v18
	;; [unrolled: 1-line block ×3, first 2 shown]
	v_sub_f32_e32 v43, v43, v42
	v_mul_f32_e32 v17, v70, v73
	v_fmac_f32_e32 v10, v33, v11
	v_fma_f32 v11, v16, v11, -v13
	v_fma_f32 v15, v70, v72, -v15
	v_mul_f32_e32 v13, v67, v69
	v_add_f32_e32 v45, v44, v45
	v_fma_f32 v37, 2.0, v37, v33
	v_fma_f32 v36, -2.0, v36, v16
	v_fma_f32 v14, v74, v14, -v12
	v_fmac_f32_e32 v17, v71, v72
	v_mul_f32_e32 v16, v15, v65
	v_mul_f32_e32 v18, v43, v34
	;; [unrolled: 1-line block ×3, first 2 shown]
	v_fma_f32 v35, v66, v68, -v13
	v_fmac_f32_e32 v50, -0.5, v51
	v_fmac_f32_e32 v92, -0.5, v93
	v_mul_f32_e32 v12, v45, v34
	v_mul_f32_e32 v34, v17, v65
	v_fmac_f32_e32 v16, v64, v17
	v_fma_f32 v13, v45, v14, -v18
	v_fmac_f32_e32 v33, v67, v68
	v_mul_f32_e32 v17, v35, v61
	v_mul_f32_e32 v18, v59, v63
	v_fmac_f32_e32 v50, 0xbf5db3d7, v46
	v_fmac_f32_e32 v92, 0x3f5db3d7, v48
	v_fma_f32 v15, v64, v15, -v34
	v_mul_f32_e32 v34, v33, v61
	v_mul_f32_e32 v38, v58, v63
	v_fmac_f32_e32 v17, v60, v33
	v_fma_f32 v18, v58, v62, -v18
	v_mul_f32_e32 v39, v27, v29
	v_fmac_f32_e32 v12, v43, v14
	v_mul_f32_e32 v14, v92, v16
	v_mul_f32_e32 v33, v50, v16
	v_fma_f32 v34, v60, v35, -v34
	v_fmac_f32_e32 v38, v59, v62
	v_mul_f32_e32 v16, v19, v17
	v_mul_f32_e32 v35, v18, v57
	;; [unrolled: 1-line block ×4, first 2 shown]
	v_fma_f32 v26, v26, v28, -v39
	v_mul_f32_e32 v51, 0x3f5db3d7, v46
	v_mul_f32_e32 v46, 0x3f5db3d7, v48
	v_fmac_f32_e32 v14, v50, v15
	v_fma_f32 v15, v92, v15, -v33
	v_mul_f32_e32 v33, v38, v57
	v_fmac_f32_e32 v35, v56, v38
	v_fma_f32 v17, v19, v34, -v17
	v_mul_f32_e32 v19, v31, v55
	v_fmac_f32_e32 v29, v27, v28
	v_mul_f32_e32 v27, v26, v7
	v_mul_f32_e32 v28, v30, v55
	v_fma_f32 v22, 2.0, v51, v50
	v_fma_f32 v21, -2.0, v46, v92
	v_fmac_f32_e32 v16, v20, v34
	v_fma_f32 v20, v56, v18, -v33
	v_mul_f32_e32 v18, v32, v35
	v_fma_f32 v30, v30, v54, -v19
	v_mul_f32_e32 v7, v29, v7
	v_fmac_f32_e32 v27, v6, v29
	v_fmac_f32_e32 v28, v31, v54
	;; [unrolled: 1-line block ×3, first 2 shown]
	v_mul_f32_e32 v19, v23, v35
	v_mul_f32_e32 v23, v30, v25
	v_fma_f32 v7, v6, v26, -v7
	v_mul_f32_e32 v6, v21, v27
	v_mul_f32_e32 v26, v22, v27
	;; [unrolled: 1-line block ×3, first 2 shown]
	v_fma_f32 v42, 2.0, v42, v43
	v_fma_f32 v44, -2.0, v44, v45
	v_fmac_f32_e32 v23, v24, v28
	v_fmac_f32_e32 v6, v22, v7
	v_fma_f32 v7, v21, v7, -v26
	v_fma_f32 v21, v24, v30, -v25
	v_mul_f32_e32 v24, v2, v5
	v_mul_f32_e32 v5, v3, v5
	v_add_nc_u32_e32 v27, 21, v124
	v_fma_f32 v19, v32, v20, -v19
	v_mul_f32_e32 v20, v44, v23
	v_mul_f32_e32 v25, v42, v23
	v_mad_u64_u32 v[22:23], null, s12, v126, 0
	v_fmac_f32_e32 v24, v3, v4
	v_fma_f32 v26, v2, v4, -v5
	v_mad_u64_u32 v[2:3], null, s12, v27, 0
	v_add_nc_u32_e32 v30, 33, v124
	v_mul_f32_e32 v28, v24, v1
	v_mul_f32_e32 v29, v26, v1
	v_mov_b32_e32 v1, v23
	v_fmac_f32_e32 v20, v42, v21
	v_fma_f32 v21, v44, v21, -v25
	v_fma_f32 v28, v0, v26, -v28
	v_fmac_f32_e32 v29, v0, v24
	v_mov_b32_e32 v0, v3
	v_mad_u64_u32 v[4:5], null, s13, v126, v[1:2]
	v_mad_u64_u32 v[24:25], null, s12, v30, 0
	;; [unrolled: 1-line block ×3, first 2 shown]
	v_mul_f32_e32 v3, v37, v29
	v_mul_f32_e32 v26, v36, v29
	v_mov_b32_e32 v23, v4
	v_mad_u64_u32 v[4:5], null, s12, v127, 0
	v_mov_b32_e32 v1, v25
	v_fma_f32 v27, v36, v28, -v3
	v_mov_b32_e32 v3, v0
	v_fmac_f32_e32 v26, v37, v28
	v_lshlrev_b64 v[22:23], 3, v[22:23]
	v_mad_u64_u32 v[28:29], null, s13, v30, v[1:2]
	v_lshlrev_b64 v[1:2], 3, v[2:3]
	v_mov_b32_e32 v0, v5
	v_add_co_u32 v22, vcc_lo, v52, v22
	v_add_co_ci_u32_e32 v23, vcc_lo, v53, v23, vcc_lo
	v_mov_b32_e32 v25, v28
	v_mad_u64_u32 v[28:29], null, s13, v127, v[0:1]
	v_add_co_u32 v0, vcc_lo, v52, v1
	global_store_dwordx2 v[22:23], v[8:9], off
	v_add_nc_u32_e32 v22, 57, v124
	v_add_co_ci_u32_e32 v1, vcc_lo, v53, v2, vcc_lo
	v_mov_b32_e32 v5, v28
	v_lshlrev_b64 v[8:9], 3, v[24:25]
	v_mad_u64_u32 v[2:3], null, s12, v22, 0
	global_store_dwordx2 v[0:1], v[10:11], off
	v_lshlrev_b64 v[0:1], 3, v[4:5]
	v_add_nc_u32_e32 v10, 0x45, v124
	v_add_co_u32 v8, vcc_lo, v52, v8
	v_add_co_ci_u32_e32 v9, vcc_lo, v53, v9, vcc_lo
                                        ; kill: def $vgpr4 killed $sgpr0 killed $exec
	v_add_co_u32 v0, vcc_lo, v52, v0
	v_mad_u64_u32 v[3:4], null, s13, v22, v[3:4]
	v_add_co_ci_u32_e32 v1, vcc_lo, v53, v1, vcc_lo
	v_mad_u64_u32 v[4:5], null, s12, v10, 0
	global_store_dwordx2 v[8:9], v[12:13], off
	global_store_dwordx2 v[0:1], v[14:15], off
	v_mad_u64_u32 v[0:1], null, s12, v125, 0
	v_lshlrev_b64 v[2:3], 3, v[2:3]
	v_add_nc_u32_e32 v15, 0x69, v124
	v_mad_u64_u32 v[10:11], null, s13, v10, v[5:6]
	v_add_nc_u32_e32 v14, 0x5d, v124
	v_mad_u64_u32 v[11:12], null, s13, v125, v[1:2]
	v_mad_u64_u32 v[12:13], null, s12, v15, 0
	v_add_co_u32 v2, vcc_lo, v52, v2
	v_add_co_ci_u32_e32 v3, vcc_lo, v53, v3, vcc_lo
	v_mov_b32_e32 v5, v10
	v_mad_u64_u32 v[8:9], null, s12, v14, 0
	global_store_dwordx2 v[2:3], v[16:17], off
	v_mov_b32_e32 v2, v13
	v_lshlrev_b64 v[3:4], 3, v[4:5]
	v_mov_b32_e32 v1, v11
	v_mad_u64_u32 v[9:10], null, s13, v14, v[9:10]
	v_mad_u64_u32 v[10:11], null, s13, v15, v[2:3]
	v_lshlrev_b64 v[0:1], 3, v[0:1]
	v_add_co_u32 v2, vcc_lo, v52, v3
	v_add_co_ci_u32_e32 v3, vcc_lo, v53, v4, vcc_lo
	v_lshlrev_b64 v[4:5], 3, v[8:9]
	v_mov_b32_e32 v13, v10
	v_add_co_u32 v0, vcc_lo, v52, v0
	v_add_co_ci_u32_e32 v1, vcc_lo, v53, v1, vcc_lo
	v_lshlrev_b64 v[8:9], 3, v[12:13]
	v_add_co_u32 v4, vcc_lo, v52, v4
	v_add_co_ci_u32_e32 v5, vcc_lo, v53, v5, vcc_lo
	v_add_co_u32 v8, vcc_lo, v52, v8
	v_add_co_ci_u32_e32 v9, vcc_lo, v53, v9, vcc_lo
	global_store_dwordx2 v[2:3], v[18:19], off
	global_store_dwordx2 v[0:1], v[6:7], off
	;; [unrolled: 1-line block ×4, first 2 shown]
	s_endpgm
	.section	.rodata,"a",@progbits
	.p2align	6, 0x0
	.amdhsa_kernel fft_rtc_back_len108_factors_6_2_9_wgs_252_tpt_9_dim2_sp_ip_CI_sbcc_twdbase8_3step_dirReg
		.amdhsa_group_segment_fixed_size 0
		.amdhsa_private_segment_fixed_size 0
		.amdhsa_kernarg_size 88
		.amdhsa_user_sgpr_count 6
		.amdhsa_user_sgpr_private_segment_buffer 1
		.amdhsa_user_sgpr_dispatch_ptr 0
		.amdhsa_user_sgpr_queue_ptr 0
		.amdhsa_user_sgpr_kernarg_segment_ptr 1
		.amdhsa_user_sgpr_dispatch_id 0
		.amdhsa_user_sgpr_flat_scratch_init 0
		.amdhsa_user_sgpr_private_segment_size 0
		.amdhsa_wavefront_size32 1
		.amdhsa_uses_dynamic_stack 0
		.amdhsa_system_sgpr_private_segment_wavefront_offset 0
		.amdhsa_system_sgpr_workgroup_id_x 1
		.amdhsa_system_sgpr_workgroup_id_y 0
		.amdhsa_system_sgpr_workgroup_id_z 0
		.amdhsa_system_sgpr_workgroup_info 0
		.amdhsa_system_vgpr_workitem_id 0
		.amdhsa_next_free_vgpr 187
		.amdhsa_next_free_sgpr 23
		.amdhsa_reserve_vcc 1
		.amdhsa_reserve_flat_scratch 0
		.amdhsa_float_round_mode_32 0
		.amdhsa_float_round_mode_16_64 0
		.amdhsa_float_denorm_mode_32 3
		.amdhsa_float_denorm_mode_16_64 3
		.amdhsa_dx10_clamp 1
		.amdhsa_ieee_mode 1
		.amdhsa_fp16_overflow 0
		.amdhsa_workgroup_processor_mode 1
		.amdhsa_memory_ordered 1
		.amdhsa_forward_progress 0
		.amdhsa_shared_vgpr_count 0
		.amdhsa_exception_fp_ieee_invalid_op 0
		.amdhsa_exception_fp_denorm_src 0
		.amdhsa_exception_fp_ieee_div_zero 0
		.amdhsa_exception_fp_ieee_overflow 0
		.amdhsa_exception_fp_ieee_underflow 0
		.amdhsa_exception_fp_ieee_inexact 0
		.amdhsa_exception_int_div_zero 0
	.end_amdhsa_kernel
	.text
.Lfunc_end0:
	.size	fft_rtc_back_len108_factors_6_2_9_wgs_252_tpt_9_dim2_sp_ip_CI_sbcc_twdbase8_3step_dirReg, .Lfunc_end0-fft_rtc_back_len108_factors_6_2_9_wgs_252_tpt_9_dim2_sp_ip_CI_sbcc_twdbase8_3step_dirReg
                                        ; -- End function
	.section	.AMDGPU.csdata,"",@progbits
; Kernel info:
; codeLenInByte = 10180
; NumSgprs: 25
; NumVgprs: 187
; ScratchSize: 0
; MemoryBound: 0
; FloatMode: 240
; IeeeMode: 1
; LDSByteSize: 0 bytes/workgroup (compile time only)
; SGPRBlocks: 3
; VGPRBlocks: 23
; NumSGPRsForWavesPerEU: 25
; NumVGPRsForWavesPerEU: 187
; Occupancy: 5
; WaveLimiterHint : 1
; COMPUTE_PGM_RSRC2:SCRATCH_EN: 0
; COMPUTE_PGM_RSRC2:USER_SGPR: 6
; COMPUTE_PGM_RSRC2:TRAP_HANDLER: 0
; COMPUTE_PGM_RSRC2:TGID_X_EN: 1
; COMPUTE_PGM_RSRC2:TGID_Y_EN: 0
; COMPUTE_PGM_RSRC2:TGID_Z_EN: 0
; COMPUTE_PGM_RSRC2:TIDIG_COMP_CNT: 0
	.text
	.p2alignl 6, 3214868480
	.fill 48, 4, 3214868480
	.type	__hip_cuid_6a199d366bb38ef1,@object ; @__hip_cuid_6a199d366bb38ef1
	.section	.bss,"aw",@nobits
	.globl	__hip_cuid_6a199d366bb38ef1
__hip_cuid_6a199d366bb38ef1:
	.byte	0                               ; 0x0
	.size	__hip_cuid_6a199d366bb38ef1, 1

	.ident	"AMD clang version 19.0.0git (https://github.com/RadeonOpenCompute/llvm-project roc-6.4.0 25133 c7fe45cf4b819c5991fe208aaa96edf142730f1d)"
	.section	".note.GNU-stack","",@progbits
	.addrsig
	.addrsig_sym __hip_cuid_6a199d366bb38ef1
	.amdgpu_metadata
---
amdhsa.kernels:
  - .args:
      - .actual_access:  read_only
        .address_space:  global
        .offset:         0
        .size:           8
        .value_kind:     global_buffer
      - .address_space:  global
        .offset:         8
        .size:           8
        .value_kind:     global_buffer
      - .actual_access:  read_only
        .address_space:  global
        .offset:         16
        .size:           8
        .value_kind:     global_buffer
      - .actual_access:  read_only
        .address_space:  global
        .offset:         24
        .size:           8
        .value_kind:     global_buffer
      - .offset:         32
        .size:           8
        .value_kind:     by_value
      - .actual_access:  read_only
        .address_space:  global
        .offset:         40
        .size:           8
        .value_kind:     global_buffer
      - .actual_access:  read_only
        .address_space:  global
        .offset:         48
        .size:           8
        .value_kind:     global_buffer
      - .offset:         56
        .size:           4
        .value_kind:     by_value
      - .actual_access:  read_only
        .address_space:  global
        .offset:         64
        .size:           8
        .value_kind:     global_buffer
      - .actual_access:  read_only
        .address_space:  global
        .offset:         72
        .size:           8
        .value_kind:     global_buffer
      - .address_space:  global
        .offset:         80
        .size:           8
        .value_kind:     global_buffer
    .group_segment_fixed_size: 0
    .kernarg_segment_align: 8
    .kernarg_segment_size: 88
    .language:       OpenCL C
    .language_version:
      - 2
      - 0
    .max_flat_workgroup_size: 252
    .name:           fft_rtc_back_len108_factors_6_2_9_wgs_252_tpt_9_dim2_sp_ip_CI_sbcc_twdbase8_3step_dirReg
    .private_segment_fixed_size: 0
    .sgpr_count:     25
    .sgpr_spill_count: 0
    .symbol:         fft_rtc_back_len108_factors_6_2_9_wgs_252_tpt_9_dim2_sp_ip_CI_sbcc_twdbase8_3step_dirReg.kd
    .uniform_work_group_size: 1
    .uses_dynamic_stack: false
    .vgpr_count:     187
    .vgpr_spill_count: 0
    .wavefront_size: 32
    .workgroup_processor_mode: 1
amdhsa.target:   amdgcn-amd-amdhsa--gfx1030
amdhsa.version:
  - 1
  - 2
...

	.end_amdgpu_metadata
